;; amdgpu-corpus repo=ROCm/rocFFT kind=compiled arch=gfx906 opt=O3
	.text
	.amdgcn_target "amdgcn-amd-amdhsa--gfx906"
	.amdhsa_code_object_version 6
	.protected	fft_rtc_back_len2002_factors_2_13_7_11_wgs_182_tpt_182_halfLds_half_op_CI_CI_unitstride_sbrr_dirReg ; -- Begin function fft_rtc_back_len2002_factors_2_13_7_11_wgs_182_tpt_182_halfLds_half_op_CI_CI_unitstride_sbrr_dirReg
	.globl	fft_rtc_back_len2002_factors_2_13_7_11_wgs_182_tpt_182_halfLds_half_op_CI_CI_unitstride_sbrr_dirReg
	.p2align	8
	.type	fft_rtc_back_len2002_factors_2_13_7_11_wgs_182_tpt_182_halfLds_half_op_CI_CI_unitstride_sbrr_dirReg,@function
fft_rtc_back_len2002_factors_2_13_7_11_wgs_182_tpt_182_halfLds_half_op_CI_CI_unitstride_sbrr_dirReg: ; @fft_rtc_back_len2002_factors_2_13_7_11_wgs_182_tpt_182_halfLds_half_op_CI_CI_unitstride_sbrr_dirReg
; %bb.0:
	s_load_dwordx4 s[8:11], s[4:5], 0x58
	s_load_dwordx4 s[12:15], s[4:5], 0x0
	;; [unrolled: 1-line block ×3, first 2 shown]
	v_mul_u32_u24_e32 v1, 0x169, v0
	v_mov_b32_e32 v3, 0
	v_mov_b32_e32 v6, 0
	s_waitcnt lgkmcnt(0)
	v_cmp_lt_u64_e64 s[0:1], s[14:15], 2
	v_add_u32_sdwa v8, s6, v1 dst_sel:DWORD dst_unused:UNUSED_PAD src0_sel:DWORD src1_sel:WORD_1
	v_mov_b32_e32 v9, v3
	s_and_b64 vcc, exec, s[0:1]
	v_mov_b32_e32 v7, 0
	s_cbranch_vccnz .LBB0_8
; %bb.1:
	s_load_dwordx2 s[0:1], s[4:5], 0x10
	s_add_u32 s2, s18, 8
	s_addc_u32 s3, s19, 0
	s_add_u32 s6, s16, 8
	s_addc_u32 s7, s17, 0
	v_mov_b32_e32 v6, 0
	s_waitcnt lgkmcnt(0)
	s_add_u32 s20, s0, 8
	v_mov_b32_e32 v7, 0
	v_mov_b32_e32 v1, v6
	s_addc_u32 s21, s1, 0
	s_mov_b64 s[22:23], 1
	v_mov_b32_e32 v2, v7
.LBB0_2:                                ; =>This Inner Loop Header: Depth=1
	s_load_dwordx2 s[24:25], s[20:21], 0x0
	s_waitcnt lgkmcnt(0)
	v_or_b32_e32 v4, s25, v9
	v_cmp_ne_u64_e32 vcc, 0, v[3:4]
                                        ; implicit-def: $vgpr4_vgpr5
	s_and_saveexec_b64 s[0:1], vcc
	s_xor_b64 s[26:27], exec, s[0:1]
	s_cbranch_execz .LBB0_4
; %bb.3:                                ;   in Loop: Header=BB0_2 Depth=1
	v_cvt_f32_u32_e32 v4, s24
	v_cvt_f32_u32_e32 v5, s25
	s_sub_u32 s0, 0, s24
	s_subb_u32 s1, 0, s25
	v_mac_f32_e32 v4, 0x4f800000, v5
	v_rcp_f32_e32 v4, v4
	v_mul_f32_e32 v4, 0x5f7ffffc, v4
	v_mul_f32_e32 v5, 0x2f800000, v4
	v_trunc_f32_e32 v5, v5
	v_mac_f32_e32 v4, 0xcf800000, v5
	v_cvt_u32_f32_e32 v5, v5
	v_cvt_u32_f32_e32 v4, v4
	v_mul_lo_u32 v10, s0, v5
	v_mul_hi_u32 v11, s0, v4
	v_mul_lo_u32 v13, s1, v4
	v_mul_lo_u32 v12, s0, v4
	v_add_u32_e32 v10, v11, v10
	v_add_u32_e32 v10, v10, v13
	v_mul_hi_u32 v11, v4, v12
	v_mul_lo_u32 v13, v4, v10
	v_mul_hi_u32 v15, v4, v10
	v_mul_hi_u32 v14, v5, v12
	v_mul_lo_u32 v12, v5, v12
	v_mul_hi_u32 v16, v5, v10
	v_add_co_u32_e32 v11, vcc, v11, v13
	v_addc_co_u32_e32 v13, vcc, 0, v15, vcc
	v_mul_lo_u32 v10, v5, v10
	v_add_co_u32_e32 v11, vcc, v11, v12
	v_addc_co_u32_e32 v11, vcc, v13, v14, vcc
	v_addc_co_u32_e32 v12, vcc, 0, v16, vcc
	v_add_co_u32_e32 v10, vcc, v11, v10
	v_addc_co_u32_e32 v11, vcc, 0, v12, vcc
	v_add_co_u32_e32 v4, vcc, v4, v10
	v_addc_co_u32_e32 v5, vcc, v5, v11, vcc
	v_mul_lo_u32 v10, s0, v5
	v_mul_hi_u32 v11, s0, v4
	v_mul_lo_u32 v12, s1, v4
	v_mul_lo_u32 v13, s0, v4
	v_add_u32_e32 v10, v11, v10
	v_add_u32_e32 v10, v10, v12
	v_mul_lo_u32 v14, v4, v10
	v_mul_hi_u32 v15, v4, v13
	v_mul_hi_u32 v16, v4, v10
	v_mul_hi_u32 v12, v5, v13
	v_mul_lo_u32 v13, v5, v13
	v_mul_hi_u32 v11, v5, v10
	v_add_co_u32_e32 v14, vcc, v15, v14
	v_addc_co_u32_e32 v15, vcc, 0, v16, vcc
	v_mul_lo_u32 v10, v5, v10
	v_add_co_u32_e32 v13, vcc, v14, v13
	v_addc_co_u32_e32 v12, vcc, v15, v12, vcc
	v_addc_co_u32_e32 v11, vcc, 0, v11, vcc
	v_add_co_u32_e32 v10, vcc, v12, v10
	v_addc_co_u32_e32 v11, vcc, 0, v11, vcc
	v_add_co_u32_e32 v10, vcc, v4, v10
	v_addc_co_u32_e32 v11, vcc, v5, v11, vcc
	v_mad_u64_u32 v[4:5], s[0:1], v8, v11, 0
	v_mul_hi_u32 v12, v8, v10
	v_add_co_u32_e32 v12, vcc, v12, v4
	v_addc_co_u32_e32 v13, vcc, 0, v5, vcc
	v_mad_u64_u32 v[4:5], s[0:1], v9, v10, 0
	v_mad_u64_u32 v[10:11], s[0:1], v9, v11, 0
	v_add_co_u32_e32 v4, vcc, v12, v4
	v_addc_co_u32_e32 v4, vcc, v13, v5, vcc
	v_addc_co_u32_e32 v5, vcc, 0, v11, vcc
	v_add_co_u32_e32 v10, vcc, v4, v10
	v_addc_co_u32_e32 v11, vcc, 0, v5, vcc
	v_mul_lo_u32 v12, s25, v10
	v_mul_lo_u32 v13, s24, v11
	v_mad_u64_u32 v[4:5], s[0:1], s24, v10, 0
	v_add3_u32 v5, v5, v13, v12
	v_sub_u32_e32 v12, v9, v5
	v_mov_b32_e32 v13, s25
	v_sub_co_u32_e32 v4, vcc, v8, v4
	v_subb_co_u32_e64 v12, s[0:1], v12, v13, vcc
	v_subrev_co_u32_e64 v13, s[0:1], s24, v4
	v_subbrev_co_u32_e64 v12, s[0:1], 0, v12, s[0:1]
	v_cmp_le_u32_e64 s[0:1], s25, v12
	v_cndmask_b32_e64 v14, 0, -1, s[0:1]
	v_cmp_le_u32_e64 s[0:1], s24, v13
	v_cndmask_b32_e64 v13, 0, -1, s[0:1]
	v_cmp_eq_u32_e64 s[0:1], s25, v12
	v_cndmask_b32_e64 v12, v14, v13, s[0:1]
	v_add_co_u32_e64 v13, s[0:1], 2, v10
	v_addc_co_u32_e64 v14, s[0:1], 0, v11, s[0:1]
	v_add_co_u32_e64 v15, s[0:1], 1, v10
	v_addc_co_u32_e64 v16, s[0:1], 0, v11, s[0:1]
	v_subb_co_u32_e32 v5, vcc, v9, v5, vcc
	v_cmp_ne_u32_e64 s[0:1], 0, v12
	v_cmp_le_u32_e32 vcc, s25, v5
	v_cndmask_b32_e64 v12, v16, v14, s[0:1]
	v_cndmask_b32_e64 v14, 0, -1, vcc
	v_cmp_le_u32_e32 vcc, s24, v4
	v_cndmask_b32_e64 v4, 0, -1, vcc
	v_cmp_eq_u32_e32 vcc, s25, v5
	v_cndmask_b32_e32 v4, v14, v4, vcc
	v_cmp_ne_u32_e32 vcc, 0, v4
	v_cndmask_b32_e64 v4, v15, v13, s[0:1]
	v_cndmask_b32_e32 v5, v11, v12, vcc
	v_cndmask_b32_e32 v4, v10, v4, vcc
.LBB0_4:                                ;   in Loop: Header=BB0_2 Depth=1
	s_andn2_saveexec_b64 s[0:1], s[26:27]
	s_cbranch_execz .LBB0_6
; %bb.5:                                ;   in Loop: Header=BB0_2 Depth=1
	v_cvt_f32_u32_e32 v4, s24
	s_sub_i32 s26, 0, s24
	v_rcp_iflag_f32_e32 v4, v4
	v_mul_f32_e32 v4, 0x4f7ffffe, v4
	v_cvt_u32_f32_e32 v4, v4
	v_mul_lo_u32 v5, s26, v4
	v_mul_hi_u32 v5, v4, v5
	v_add_u32_e32 v4, v4, v5
	v_mul_hi_u32 v4, v8, v4
	v_mul_lo_u32 v5, v4, s24
	v_add_u32_e32 v10, 1, v4
	v_sub_u32_e32 v5, v8, v5
	v_subrev_u32_e32 v11, s24, v5
	v_cmp_le_u32_e32 vcc, s24, v5
	v_cndmask_b32_e32 v5, v5, v11, vcc
	v_cndmask_b32_e32 v4, v4, v10, vcc
	v_add_u32_e32 v10, 1, v4
	v_cmp_le_u32_e32 vcc, s24, v5
	v_cndmask_b32_e32 v4, v4, v10, vcc
	v_mov_b32_e32 v5, v3
.LBB0_6:                                ;   in Loop: Header=BB0_2 Depth=1
	s_or_b64 exec, exec, s[0:1]
	v_mul_lo_u32 v12, v5, s24
	v_mul_lo_u32 v13, v4, s25
	v_mad_u64_u32 v[10:11], s[0:1], v4, s24, 0
	s_load_dwordx2 s[0:1], s[6:7], 0x0
	s_load_dwordx2 s[24:25], s[2:3], 0x0
	v_add3_u32 v11, v11, v13, v12
	v_sub_co_u32_e32 v8, vcc, v8, v10
	v_subb_co_u32_e32 v9, vcc, v9, v11, vcc
	s_waitcnt lgkmcnt(0)
	v_mul_lo_u32 v10, s0, v9
	v_mul_lo_u32 v11, s1, v8
	v_mad_u64_u32 v[6:7], s[0:1], s0, v8, v[6:7]
	v_mul_lo_u32 v9, s24, v9
	v_mul_lo_u32 v12, s25, v8
	v_mad_u64_u32 v[1:2], s[0:1], s24, v8, v[1:2]
	s_add_u32 s22, s22, 1
	s_addc_u32 s23, s23, 0
	s_add_u32 s2, s2, 8
	v_add3_u32 v2, v12, v2, v9
	s_addc_u32 s3, s3, 0
	v_mov_b32_e32 v8, s14
	s_add_u32 s6, s6, 8
	v_mov_b32_e32 v9, s15
	s_addc_u32 s7, s7, 0
	v_cmp_ge_u64_e32 vcc, s[22:23], v[8:9]
	s_add_u32 s20, s20, 8
	v_add3_u32 v7, v11, v7, v10
	s_addc_u32 s21, s21, 0
	s_cbranch_vccnz .LBB0_9
; %bb.7:                                ;   in Loop: Header=BB0_2 Depth=1
	v_mov_b32_e32 v9, v5
	v_mov_b32_e32 v8, v4
	s_branch .LBB0_2
.LBB0_8:
	v_mov_b32_e32 v1, v6
	v_mov_b32_e32 v4, v8
	;; [unrolled: 1-line block ×4, first 2 shown]
.LBB0_9:
	s_load_dwordx2 s[2:3], s[4:5], 0x28
	s_lshl_b64 s[6:7], s[14:15], 3
	s_add_u32 s4, s18, s6
	s_addc_u32 s5, s19, s7
                                        ; implicit-def: $sgpr14
                                        ; implicit-def: $sgpr15
                                        ; implicit-def: $vgpr8
	s_waitcnt lgkmcnt(0)
	v_cmp_gt_u64_e64 s[0:1], s[2:3], v[4:5]
	v_cmp_le_u64_e32 vcc, s[2:3], v[4:5]
	s_and_saveexec_b64 s[2:3], vcc
	s_xor_b64 s[2:3], exec, s[2:3]
; %bb.10:
	s_mov_b32 s14, 0x1681682
	v_mul_hi_u32 v3, v0, s14
	s_mov_b32 s15, 0
	s_mov_b32 s14, 0
                                        ; implicit-def: $vgpr6_vgpr7
	v_mul_u32_u24_e32 v3, 0xb6, v3
	v_sub_u32_e32 v8, v0, v3
                                        ; implicit-def: $vgpr0
; %bb.11:
	s_or_saveexec_b64 s[2:3], s[2:3]
	s_load_dwordx2 s[4:5], s[4:5], 0x0
	v_mov_b32_e32 v9, s15
	v_mov_b32_e32 v33, s15
	;; [unrolled: 1-line block ×3, first 2 shown]
                                        ; implicit-def: $vgpr23
                                        ; implicit-def: $vgpr11
                                        ; implicit-def: $vgpr22
                                        ; implicit-def: $vgpr10
                                        ; implicit-def: $vgpr25
                                        ; implicit-def: $vgpr13
                                        ; implicit-def: $vgpr24
                                        ; implicit-def: $vgpr12
                                        ; implicit-def: $vgpr27
                                        ; implicit-def: $vgpr14
                                        ; implicit-def: $vgpr26
                                        ; implicit-def: $vgpr15
                                        ; implicit-def: $vgpr29
                                        ; implicit-def: $vgpr16
                                        ; implicit-def: $vgpr28
                                        ; implicit-def: $vgpr19
                                        ; implicit-def: $vgpr32
                                        ; implicit-def: $vgpr20
                                        ; implicit-def: $vgpr30
                                        ; implicit-def: $vgpr21
                                        ; implicit-def: $vgpr31
                                        ; implicit-def: $vgpr34
	s_xor_b64 exec, exec, s[2:3]
	s_cbranch_execz .LBB0_15
; %bb.12:
	s_add_u32 s6, s16, s6
	s_addc_u32 s7, s17, s7
	s_load_dwordx2 s[6:7], s[6:7], 0x0
	s_mov_b32 s14, 0x1681682
	v_mul_hi_u32 v3, v0, s14
	v_lshlrev_b64 v[6:7], 2, v[6:7]
	v_mov_b32_e32 v33, 0
	s_waitcnt lgkmcnt(0)
	v_mul_lo_u32 v11, s7, v4
	v_mul_lo_u32 v12, s6, v5
	v_mad_u64_u32 v[9:10], s[6:7], s6, v4, 0
	v_mul_u32_u24_e32 v3, 0xb6, v3
	v_sub_u32_e32 v8, v0, v3
	v_add3_u32 v10, v10, v12, v11
	v_lshlrev_b64 v[9:10], 2, v[9:10]
	v_mov_b32_e32 v0, s9
	v_add_co_u32_e32 v3, vcc, s8, v9
	v_addc_co_u32_e32 v0, vcc, v0, v10, vcc
	v_add_co_u32_e32 v3, vcc, v3, v6
	v_addc_co_u32_e32 v0, vcc, v0, v7, vcc
	v_lshlrev_b32_e32 v6, 2, v8
	v_add_co_u32_e32 v6, vcc, v3, v6
	v_addc_co_u32_e32 v7, vcc, 0, v0, vcc
	s_movk_i32 s6, 0x1000
	v_add_co_u32_e32 v17, vcc, s6, v6
	v_addc_co_u32_e32 v18, vcc, 0, v7, vcc
	global_load_dword v12, v[17:18], off offset:636
	global_load_dword v15, v[17:18], off offset:1364
	global_load_dword v11, v[6:7], off
	global_load_dword v13, v[6:7], off offset:728
	global_load_dword v14, v[6:7], off offset:1456
	global_load_dword v16, v[6:7], off offset:2184
	global_load_dword v10, v[6:7], off offset:4004
	global_load_dword v20, v[6:7], off offset:2912
	global_load_dword v19, v[17:18], off offset:2092
	global_load_dword v21, v[17:18], off offset:2820
	s_movk_i32 s6, 0x5b
	v_cmp_gt_u32_e32 vcc, s6, v8
	v_mov_b32_e32 v9, 0
                                        ; implicit-def: $vgpr34
                                        ; implicit-def: $vgpr31
	s_and_saveexec_b64 s[6:7], vcc
	s_cbranch_execz .LBB0_14
; %bb.13:
	v_add_co_u32_e32 v17, vcc, 0x1000, v6
	v_addc_co_u32_e32 v18, vcc, 0, v7, vcc
	global_load_dword v33, v[6:7], off offset:3640
	global_load_dword v34, v[17:18], off offset:3548
	s_waitcnt vmcnt(1)
	v_lshrrev_b32_e32 v9, 16, v33
	s_waitcnt vmcnt(0)
	v_lshrrev_b32_e32 v31, 16, v34
.LBB0_14:
	s_or_b64 exec, exec, s[6:7]
	s_waitcnt vmcnt(7)
	v_lshrrev_b32_e32 v23, 16, v11
	s_waitcnt vmcnt(3)
	v_lshrrev_b32_e32 v22, 16, v10
	v_lshrrev_b32_e32 v25, 16, v13
	v_lshrrev_b32_e32 v24, 16, v12
	v_lshrrev_b32_e32 v27, 16, v14
	v_lshrrev_b32_e32 v26, 16, v15
	v_lshrrev_b32_e32 v29, 16, v16
	s_waitcnt vmcnt(1)
	v_lshrrev_b32_e32 v28, 16, v19
	v_lshrrev_b32_e32 v32, 16, v20
	s_waitcnt vmcnt(0)
	v_lshrrev_b32_e32 v30, 16, v21
	v_mov_b32_e32 v3, v8
.LBB0_15:
	s_or_b64 exec, exec, s[2:3]
	v_sub_f16_e32 v12, v13, v12
	v_sub_f16_e32 v10, v11, v10
	v_fma_f16 v17, v13, 2.0, -v12
	v_sub_f16_e32 v13, v14, v15
	v_fma_f16 v11, v11, 2.0, -v10
	v_fma_f16 v18, v14, 2.0, -v13
	v_sub_f16_e32 v14, v16, v19
	v_fma_f16 v19, v16, 2.0, -v14
	v_sub_f16_e32 v16, v33, v34
	v_lshl_add_u32 v34, v8, 2, 0
	v_pack_b32_f16 v0, v11, v10
	v_add_u32_e32 v6, 0xb6, v8
	v_sub_f16_e32 v15, v20, v21
	ds_write_b32 v34, v0
	v_lshl_add_u32 v35, v6, 2, 0
	v_pack_b32_f16 v0, v17, v12
	v_fma_f16 v20, v20, 2.0, -v15
	v_fma_f16 v21, v33, 2.0, -v16
	ds_write_b32 v35, v0
	v_pack_b32_f16 v0, v18, v13
	v_pack_b32_f16 v7, v19, v14
	v_add_u32_e32 v33, 0x500, v34
	ds_write2_b32 v33, v0, v7 offset0:44 offset1:226
	v_pack_b32_f16 v0, v20, v15
	ds_write_b32 v34, v0 offset:2912
	v_add_u32_e32 v0, 0x38e, v8
	s_movk_i32 s2, 0x5b
	v_cmp_gt_u32_e64 s[2:3], s2, v8
	v_lshl_add_u32 v0, v0, 2, 0
	s_and_saveexec_b64 s[6:7], s[2:3]
	s_cbranch_execz .LBB0_17
; %bb.16:
	s_mov_b32 s8, 0x5040100
	v_perm_b32 v7, v16, v21, s8
	ds_write_b32 v0, v7
.LBB0_17:
	s_or_b64 exec, exec, s[6:7]
	s_movk_i32 s6, 0x9a
	v_add_u32_e32 v38, 0x5b0, v34
	v_add_u32_e32 v37, 0x888, v34
	;; [unrolled: 1-line block ×3, first 2 shown]
	v_cmp_gt_u32_e32 vcc, s6, v8
	s_waitcnt lgkmcnt(0)
	s_barrier
	s_waitcnt lgkmcnt(0)
                                        ; implicit-def: $vgpr33
	s_and_saveexec_b64 s[6:7], vcc
	s_cbranch_execz .LBB0_19
; %bb.18:
	v_lshlrev_b32_e32 v7, 1, v8
	v_sub_u32_e32 v7, v34, v7
	ds_read_u16 v11, v7
	ds_read_u16 v10, v7 offset:308
	ds_read_u16 v17, v7 offset:616
	;; [unrolled: 1-line block ×12, first 2 shown]
.LBB0_19:
	s_or_b64 exec, exec, s[6:7]
	v_sub_f16_e32 v22, v23, v22
	v_sub_f16_e32 v24, v25, v24
	;; [unrolled: 1-line block ×5, first 2 shown]
	v_fma_f16 v7, v23, 2.0, -v22
	v_fma_f16 v23, v25, 2.0, -v24
	;; [unrolled: 1-line block ×5, first 2 shown]
	v_sub_f16_e32 v32, v9, v31
	v_fma_f16 v31, v9, 2.0, -v32
	v_pack_b32_f16 v9, v7, v22
	s_waitcnt lgkmcnt(0)
	s_barrier
	ds_write_b32 v34, v9
	v_pack_b32_f16 v9, v23, v24
	ds_write_b32 v35, v9
	v_pack_b32_f16 v9, v25, v26
	;; [unrolled: 2-line block ×4, first 2 shown]
	ds_write_b32 v36, v9
	s_and_saveexec_b64 s[6:7], s[2:3]
	s_cbranch_execz .LBB0_21
; %bb.20:
	s_mov_b32 s2, 0x5040100
	v_perm_b32 v9, v32, v31, s2
	ds_write_b32 v0, v9
.LBB0_21:
	s_or_b64 exec, exec, s[6:7]
	v_lshl_add_u32 v0, v8, 1, 0
	s_waitcnt lgkmcnt(0)
	s_barrier
	s_waitcnt lgkmcnt(0)
                                        ; implicit-def: $vgpr34
	s_and_saveexec_b64 s[2:3], vcc
	s_cbranch_execz .LBB0_23
; %bb.22:
	ds_read_u16 v7, v0
	ds_read_u16 v22, v0 offset:308
	ds_read_u16 v23, v0 offset:616
	;; [unrolled: 1-line block ×12, first 2 shown]
.LBB0_23:
	s_or_b64 exec, exec, s[2:3]
	v_and_b32_e32 v9, 1, v8
	v_mul_u32_u24_e32 v35, 12, v9
	v_lshlrev_b32_e32 v35, 2, v35
	global_load_dwordx4 v[36:39], v35, s[12:13]
	global_load_dwordx4 v[40:43], v35, s[12:13] offset:16
	global_load_dwordx4 v[44:47], v35, s[12:13] offset:32
	s_mov_b32 s2, 0xb770ba95
	s_mov_b32 s6, 0x3b15388b
	;; [unrolled: 1-line block ×20, first 2 shown]
	s_waitcnt vmcnt(0) lgkmcnt(0)
	s_barrier
	v_mul_f16_sdwa v35, v22, v36 dst_sel:DWORD dst_unused:UNUSED_PAD src0_sel:DWORD src1_sel:WORD_1
	v_mul_f16_sdwa v48, v10, v36 dst_sel:DWORD dst_unused:UNUSED_PAD src0_sel:DWORD src1_sel:WORD_1
	;; [unrolled: 1-line block ×24, first 2 shown]
	v_fma_f16 v35, v10, v36, v35
	v_fma_f16 v22, v22, v36, -v48
	v_fma_f16 v36, v17, v37, v49
	v_fma_f16 v23, v23, v37, -v50
	;; [unrolled: 2-line block ×12, first 2 shown]
	v_sub_f16_e32 v10, v22, v33
	v_add_f16_e32 v47, v35, v46
	v_sub_f16_e32 v34, v23, v32
	v_pk_mul_f16 v18, v10, s2 op_sel_hi:[0,1]
	v_add_f16_e32 v48, v36, v45
	v_sub_f16_e32 v59, v24, v31
	v_pk_mul_f16 v17, v34, s3 op_sel_hi:[0,1]
	v_pk_fma_f16 v12, v47, s6, v18 op_sel_hi:[0,1,1] neg_lo:[0,0,1] neg_hi:[0,0,1]
	v_add_f16_e32 v50, v37, v44
	v_sub_f16_e32 v60, v25, v30
	v_pk_mul_f16 v16, v59, s16 op_sel_hi:[0,1]
	v_pk_fma_f16 v13, v48, s7, v17 op_sel_hi:[0,1,1] neg_lo:[0,0,1] neg_hi:[0,0,1]
	v_pk_add_f16 v12, v11, v12 op_sel_hi:[0,1]
	v_add_f16_e32 v51, v38, v43
	v_sub_f16_e32 v61, v26, v29
	v_pk_mul_f16 v15, v60, s17 op_sel_hi:[0,1]
	v_pk_fma_f16 v19, v50, s8, v16 op_sel_hi:[0,1,1] neg_lo:[0,0,1] neg_hi:[0,0,1]
	v_pk_add_f16 v12, v13, v12
	v_add_f16_e32 v52, v39, v42
	v_sub_f16_e32 v62, v27, v28
	v_pk_mul_f16 v14, v61, s18 op_sel_hi:[0,1]
	v_pk_fma_f16 v20, v51, s9, v15 op_sel_hi:[0,1,1] neg_lo:[0,0,1] neg_hi:[0,0,1]
	v_pk_add_f16 v12, v19, v12
	v_add_f16_e32 v54, v40, v41
	v_pk_fma_f16 v21, v52, s14, v14 op_sel_hi:[0,1,1] neg_lo:[0,0,1] neg_hi:[0,0,1]
	v_pk_add_f16 v12, v20, v12
	v_pk_mul_f16 v19, v62, s19 op_sel_hi:[0,1]
	s_mov_b32 s2, 0xbbf1bb7b
	v_pk_add_f16 v12, v21, v12
	v_pk_fma_f16 v13, v54, s15, v19 op_sel_hi:[0,1,1] neg_lo:[0,0,1] neg_hi:[0,0,1]
	s_mov_b32 s16, 0x2fb7b5ac
	v_pk_mul_f16 v20, v10, s2 op_sel_hi:[0,1]
	s_mov_b32 s2, 0xb3a8394e
	v_pk_add_f16 v12, v13, v12
	v_pk_fma_f16 v13, v47, s16, v20 op_sel_hi:[0,1,1] neg_lo:[0,0,1] neg_hi:[0,0,1]
	s_mov_b32 s17, 0xbbc4b9fd
	v_pk_mul_f16 v21, v34, s2 op_sel_hi:[0,1]
	v_pk_add_f16 v13, v11, v13 op_sel_hi:[0,1]
	v_pk_fma_f16 v49, v48, s17, v21 op_sel_hi:[0,1,1] neg_lo:[0,0,1] neg_hi:[0,0,1]
	s_mov_b32 s2, 0x3b7b3770
	v_pk_add_f16 v13, v49, v13
	s_mov_b32 s18, 0xb5ac3b15
	v_pk_mul_f16 v49, v59, s2 op_sel_hi:[0,1]
	v_pk_fma_f16 v53, v50, s18, v49 op_sel_hi:[0,1,1] neg_lo:[0,0,1] neg_hi:[0,0,1]
	s_mov_b32 s2, 0x3770bbf1
	v_pk_add_f16 v13, v53, v13
	s_mov_b32 s19, 0x3b152fb7
	v_pk_mul_f16 v53, v60, s2 op_sel_hi:[0,1]
	v_pk_fma_f16 v55, v51, s19, v53 op_sel_hi:[0,1,1] neg_lo:[0,0,1] neg_hi:[0,0,1]
	s_mov_b32 s2, 0xba9533a8
	v_pk_add_f16 v13, v55, v13
	v_pk_mul_f16 v55, v61, s2 op_sel_hi:[0,1]
	v_pk_fma_f16 v56, v52, s20, v55 op_sel_hi:[0,1,1] neg_lo:[0,0,1] neg_hi:[0,0,1]
	s_mov_b32 s2, 0xb94e3a95
	v_pk_add_f16 v13, v56, v13
	;; [unrolled: 4-line block ×3, first 2 shown]
	v_pk_mul_f16 v57, v10, s2 op_sel_hi:[0,1]
	s_mov_b32 s2, 0x3bf13770
	v_pk_fma_f16 v10, v47, s22, v57 op_sel_hi:[0,1,1] neg_lo:[0,0,1] neg_hi:[0,0,1]
	v_pk_mul_f16 v58, v34, s2 op_sel_hi:[0,1]
	s_mov_b32 s2, 0xba95b94e
	v_pk_add_f16 v10, v11, v10 op_sel_hi:[0,1]
	v_pk_fma_f16 v34, v48, s23, v58 op_sel_hi:[0,1,1] neg_lo:[0,0,1] neg_hi:[0,0,1]
	v_pk_mul_f16 v59, v59, s2 op_sel_hi:[0,1]
	s_mov_b32 s2, 0x33a83a95
	v_pk_add_f16 v10, v34, v10
	v_pk_fma_f16 v34, v50, s24, v59 op_sel_hi:[0,1,1] neg_lo:[0,0,1] neg_hi:[0,0,1]
	v_pk_mul_f16 v60, v60, s2 op_sel_hi:[0,1]
	s_mov_b32 s2, 0x3770bb7b
	v_pk_add_f16 v10, v34, v10
	;; [unrolled: 4-line block ×3, first 2 shown]
	v_pk_fma_f16 v34, v52, s26, v61 op_sel_hi:[0,1,1] neg_lo:[0,0,1] neg_hi:[0,0,1]
	v_pk_mul_f16 v62, v62, s2 op_sel_hi:[0,1]
	v_pk_add_f16 v10, v34, v10
	v_pk_fma_f16 v34, v54, s27, v62 op_sel_hi:[0,1,1] neg_lo:[0,0,1] neg_hi:[0,0,1]
	v_pk_add_f16 v10, v34, v10
	v_lshrrev_b32_e32 v34, 1, v8
	s_and_saveexec_b64 s[2:3], vcc
	s_cbranch_execz .LBB0_25
; %bb.24:
	v_add_f16_e32 v75, v11, v35
	v_pk_mul_f16 v63, v47, s6 op_sel_hi:[0,1]
	v_pk_mul_f16 v69, v47, s16 op_sel_hi:[0,1]
	;; [unrolled: 1-line block ×3, first 2 shown]
	v_add_f16_e32 v75, v75, v36
	v_pk_mul_f16 v64, v48, s7 op_sel_hi:[0,1]
	v_pk_mul_f16 v70, v48, s17 op_sel_hi:[0,1]
	;; [unrolled: 1-line block ×3, first 2 shown]
	v_add_f16_e32 v75, v75, v37
	v_pk_add_f16 v47, v47, v57
	v_add_f16_e32 v75, v75, v38
	v_add_f16_e32 v57, v11, v47
	v_pk_add_f16 v48, v48, v58
	v_add_f16_sdwa v47, v11, v47 dst_sel:DWORD dst_unused:UNUSED_PAD src0_sel:DWORD src1_sel:WORD_1
	v_pk_add_f16 v20, v69, v20
	v_add_f16_e32 v75, v75, v39
	v_add_f16_e32 v57, v48, v57
	v_add_f16_sdwa v47, v48, v47 dst_sel:DWORD dst_unused:UNUSED_PAD src0_sel:WORD_1 src1_sel:DWORD
	v_add_f16_e32 v48, v11, v20
	v_pk_add_f16 v21, v70, v21
	v_add_f16_sdwa v20, v11, v20 dst_sel:DWORD dst_unused:UNUSED_PAD src0_sel:DWORD src1_sel:WORD_1
	v_pk_add_f16 v18, v63, v18
	v_pk_mul_f16 v65, v50, s8 op_sel_hi:[0,1]
	v_add_f16_e32 v75, v75, v40
	v_add_f16_e32 v48, v21, v48
	v_add_f16_sdwa v20, v21, v20 dst_sel:DWORD dst_unused:UNUSED_PAD src0_sel:WORD_1 src1_sel:DWORD
	v_add_f16_e32 v21, v11, v18
	v_pk_add_f16 v17, v64, v17
	v_add_f16_sdwa v11, v11, v18 dst_sel:DWORD dst_unused:UNUSED_PAD src0_sel:DWORD src1_sel:WORD_1
	v_pk_mul_f16 v66, v51, s9 op_sel_hi:[0,1]
	v_add_f16_e32 v75, v75, v41
	v_add_f16_e32 v21, v17, v21
	v_pk_add_f16 v16, v65, v16
	v_add_f16_sdwa v11, v17, v11 dst_sel:DWORD dst_unused:UNUSED_PAD src0_sel:WORD_1 src1_sel:DWORD
	v_pk_mul_f16 v67, v52, s14 op_sel_hi:[0,1]
	v_pk_mul_f16 v71, v50, s18 op_sel_hi:[0,1]
	;; [unrolled: 1-line block ×3, first 2 shown]
	v_add_f16_e32 v75, v75, v42
	v_add_f16_e32 v21, v16, v21
	v_pk_add_f16 v15, v66, v15
	v_add_f16_sdwa v11, v16, v11 dst_sel:DWORD dst_unused:UNUSED_PAD src0_sel:WORD_1 src1_sel:DWORD
	v_pk_mul_f16 v72, v51, s19 op_sel_hi:[0,1]
	v_pk_mul_f16 v51, v51, s25 op_sel_hi:[0,1]
	v_add_f16_e32 v75, v75, v43
	v_pk_add_f16 v50, v50, v59
	v_pk_add_f16 v49, v71, v49
	v_add_f16_e32 v21, v15, v21
	v_pk_add_f16 v14, v67, v14
	v_add_f16_sdwa v11, v15, v11 dst_sel:DWORD dst_unused:UNUSED_PAD src0_sel:WORD_1 src1_sel:DWORD
	v_pk_mul_f16 v73, v52, s20 op_sel_hi:[0,1]
	v_pk_mul_f16 v52, v52, s26 op_sel_hi:[0,1]
	v_add_f16_e32 v75, v75, v44
	v_add_f16_e32 v57, v50, v57
	v_pk_add_f16 v51, v51, v60
	v_add_f16_sdwa v47, v50, v47 dst_sel:DWORD dst_unused:UNUSED_PAD src0_sel:WORD_1 src1_sel:DWORD
	v_add_f16_e32 v48, v49, v48
	v_pk_add_f16 v50, v72, v53
	v_add_f16_sdwa v20, v49, v20 dst_sel:DWORD dst_unused:UNUSED_PAD src0_sel:WORD_1 src1_sel:DWORD
	v_add_f16_e32 v21, v14, v21
	v_add_f16_sdwa v11, v14, v11 dst_sel:DWORD dst_unused:UNUSED_PAD src0_sel:WORD_1 src1_sel:DWORD
	v_mul_u32_u24_e32 v14, 26, v34
	v_pk_mul_f16 v68, v54, s15 op_sel_hi:[0,1]
	v_pk_mul_f16 v74, v54, s21 op_sel_hi:[0,1]
	v_pk_mul_f16 v54, v54, s27 op_sel_hi:[0,1]
	v_add_f16_e32 v75, v75, v45
	v_add_f16_e32 v57, v51, v57
	v_pk_add_f16 v52, v52, v61
	v_add_f16_sdwa v47, v51, v47 dst_sel:DWORD dst_unused:UNUSED_PAD src0_sel:WORD_1 src1_sel:DWORD
	v_add_f16_e32 v48, v50, v48
	v_pk_add_f16 v51, v73, v55
	v_add_f16_sdwa v20, v50, v20 dst_sel:DWORD dst_unused:UNUSED_PAD src0_sel:WORD_1 src1_sel:DWORD
	v_or_b32_e32 v14, v14, v9
	v_add_f16_e32 v75, v75, v46
	v_add_f16_e32 v57, v52, v57
	v_pk_add_f16 v54, v54, v62
	v_add_f16_sdwa v47, v52, v47 dst_sel:DWORD dst_unused:UNUSED_PAD src0_sel:WORD_1 src1_sel:DWORD
	v_add_f16_e32 v48, v51, v48
	v_pk_add_f16 v52, v74, v56
	v_add_f16_sdwa v20, v51, v20 dst_sel:DWORD dst_unused:UNUSED_PAD src0_sel:WORD_1 src1_sel:DWORD
	v_pk_add_f16 v19, v68, v19
	v_lshl_add_u32 v14, v14, 1, 0
	v_add_f16_e32 v57, v54, v57
	v_add_f16_sdwa v47, v54, v47 dst_sel:DWORD dst_unused:UNUSED_PAD src0_sel:WORD_1 src1_sel:DWORD
	v_add_f16_e32 v48, v52, v48
	v_add_f16_sdwa v20, v52, v20 dst_sel:DWORD dst_unused:UNUSED_PAD src0_sel:WORD_1 src1_sel:DWORD
	;; [unrolled: 2-line block ×3, first 2 shown]
	ds_write_b16 v14, v75
	ds_write_b16 v14, v11 offset:4
	ds_write_b16 v14, v21 offset:8
	;; [unrolled: 1-line block ×7, first 2 shown]
	ds_write_b16_d16_hi v14, v10 offset:32
	ds_write_b16 v14, v13 offset:36
	ds_write_b16_d16_hi v14, v13 offset:40
	ds_write_b16 v14, v12 offset:44
	ds_write_b16_d16_hi v14, v12 offset:48
.LBB0_25:
	s_or_b64 exec, exec, s[2:3]
	s_waitcnt lgkmcnt(0)
	s_barrier
	ds_read_u16 v14, v0
	ds_read_u16 v21, v0 offset:572
	ds_read_u16 v20, v0 offset:1144
	;; [unrolled: 1-line block ×6, first 2 shown]
	s_movk_i32 s2, 0x68
	v_cmp_gt_u32_e64 s[2:3], s2, v8
                                        ; implicit-def: $vgpr15
	s_and_saveexec_b64 s[6:7], s[2:3]
	s_cbranch_execz .LBB0_27
; %bb.26:
	ds_read_u16 v10, v0 offset:364
	ds_read_u16 v11, v0 offset:936
	;; [unrolled: 1-line block ×7, first 2 shown]
	s_mov_b32 s8, 0x5040100
	s_waitcnt lgkmcnt(5)
	v_perm_b32 v10, v11, v10, s8
	s_waitcnt lgkmcnt(3)
	v_perm_b32 v13, v13, v12, s8
	;; [unrolled: 2-line block ×3, first 2 shown]
.LBB0_27:
	s_or_b64 exec, exec, s[6:7]
	v_add_f16_e32 v11, v22, v33
	s_mov_b32 s6, 0x388b2fb7
	v_sub_f16_e32 v46, v35, v46
	v_add_f16_e32 v56, v23, v32
	v_sub_f16_e32 v44, v37, v44
	v_pk_mul_f16 v37, v11, s6 op_sel_hi:[0,1]
	s_mov_b32 s8, 0xba95bbf1
	s_mov_b32 s7, 0xb5acbbc4
	v_sub_f16_e32 v45, v36, v45
	v_add_f16_e32 v57, v24, v31
	v_sub_f16_e32 v43, v38, v43
	v_pk_fma_f16 v35, v46, s8, v37 op_sel_hi:[0,1,1]
	v_pk_mul_f16 v38, v56, s7 op_sel_hi:[0,1]
	s_mov_b32 s9, 0xbb7bb3a8
	s_mov_b32 s21, 0xbbc4b5ac
	v_add_f16_e32 v58, v25, v30
	v_sub_f16_e32 v47, v39, v42
	v_pk_add_f16 v35, v7, v35 op_sel_hi:[0,1]
	v_pk_fma_f16 v36, v45, s9, v38 op_sel_hi:[0,1,1]
	v_pk_mul_f16 v39, v57, s21 op_sel_hi:[0,1]
	s_mov_b32 s15, 0xb3a83b7b
	s_mov_b32 s20, 0xb9fd3b15
	v_add_f16_e32 v59, v26, v29
	v_sub_f16_e32 v49, v40, v41
	v_pk_add_f16 v35, v36, v35
	v_pk_fma_f16 v36, v44, s15, v39 op_sel_hi:[0,1,1]
	v_pk_mul_f16 v40, v58, s20 op_sel_hi:[0,1]
	s_mov_b32 s14, 0x394e3770
	s_mov_b32 s22, 0x2fb7388b
	v_add_f16_e32 v60, v27, v28
	v_pk_add_f16 v35, v36, v35
	v_pk_fma_f16 v36, v43, s14, v40 op_sel_hi:[0,1,1]
	v_pk_mul_f16 v41, v59, s22 op_sel_hi:[0,1]
	s_mov_b32 s17, 0x3bf1ba95
	s_mov_b32 s23, 0x3b15b9fd
	v_pk_add_f16 v35, v36, v35
	v_pk_fma_f16 v36, v47, s17, v41 op_sel_hi:[0,1,1]
	v_pk_mul_f16 v42, v60, s23 op_sel_hi:[0,1]
	s_mov_b32 s16, 0x3770b94e
	v_pk_add_f16 v35, v36, v35
	v_pk_fma_f16 v36, v49, s16, v42 op_sel_hi:[0,1,1]
	v_pk_mul_f16 v48, v11, s20 op_sel_hi:[0,1]
	s_mov_b32 s18, 0xb94eb770
	v_pk_add_f16 v35, v36, v35
	v_pk_fma_f16 v36, v46, s18, v48 op_sel_hi:[0,1,1]
	v_pk_mul_f16 v50, v56, s22 op_sel_hi:[0,1]
	v_pk_add_f16 v36, v7, v36 op_sel_hi:[0,1]
	v_pk_fma_f16 v51, v45, s17, v50 op_sel_hi:[0,1,1]
	v_pk_add_f16 v36, v51, v36
	v_pk_mul_f16 v51, v57, s6 op_sel_hi:[0,1]
	v_pk_fma_f16 v52, v44, s8, v51 op_sel_hi:[0,1,1]
	v_pk_add_f16 v36, v52, v36
	v_pk_mul_f16 v52, v58, s21 op_sel_hi:[0,1]
	s_mov_b32 s19, 0x33a8bb7b
	v_pk_fma_f16 v53, v43, s19, v52 op_sel_hi:[0,1,1]
	v_pk_add_f16 v36, v53, v36
	v_pk_mul_f16 v53, v59, s23 op_sel_hi:[0,1]
	v_pk_fma_f16 v54, v47, s16, v53 op_sel_hi:[0,1,1]
	v_pk_add_f16 v36, v54, v36
	v_pk_mul_f16 v54, v60, s7 op_sel_hi:[0,1]
	;; [unrolled: 3-line block ×3, first 2 shown]
	v_pk_fma_f16 v11, v46, s9, v55 op_sel_hi:[0,1,1]
	v_pk_mul_f16 v56, v56, s20 op_sel_hi:[0,1]
	v_pk_add_f16 v11, v7, v11 op_sel_hi:[0,1]
	v_pk_fma_f16 v61, v45, s14, v56 op_sel_hi:[0,1,1]
	v_pk_mul_f16 v57, v57, s23 op_sel_hi:[0,1]
	v_pk_add_f16 v11, v61, v11
	v_pk_fma_f16 v61, v44, s16, v57 op_sel_hi:[0,1,1]
	v_pk_mul_f16 v58, v58, s22 op_sel_hi:[0,1]
	s_mov_b32 s20, 0xbbf13a95
	v_pk_add_f16 v11, v61, v11
	v_pk_fma_f16 v61, v43, s20, v58 op_sel_hi:[0,1,1]
	v_pk_mul_f16 v59, v59, s21 op_sel_hi:[0,1]
	v_pk_add_f16 v11, v61, v11
	v_pk_fma_f16 v61, v47, s19, v59 op_sel_hi:[0,1,1]
	v_pk_mul_f16 v60, v60, s6 op_sel_hi:[0,1]
	s_mov_b32 s21, 0x3a953bf1
	v_pk_add_f16 v11, v61, v11
	v_pk_fma_f16 v61, v49, s21, v60 op_sel_hi:[0,1,1]
	v_pk_add_f16 v11, v61, v11
	s_waitcnt lgkmcnt(0)
	s_barrier
	s_and_saveexec_b64 s[6:7], vcc
	s_cbranch_execz .LBB0_29
; %bb.28:
	v_add_f16_e32 v22, v7, v22
	v_pk_mul_f16 v61, v46, s8 op_sel_hi:[0,1]
	v_add_f16_e32 v22, v22, v23
	v_pk_mul_f16 v62, v45, s9 op_sel_hi:[0,1]
	v_add_f16_e32 v22, v22, v24
	v_pk_add_f16 v23, v37, v61 neg_lo:[0,1] neg_hi:[0,1]
	v_pk_mul_f16 v63, v44, s15 op_sel_hi:[0,1]
	v_add_f16_e32 v22, v22, v25
	v_add_f16_sdwa v24, v7, v23 dst_sel:DWORD dst_unused:UNUSED_PAD src0_sel:DWORD src1_sel:WORD_1
	v_add_f16_e32 v23, v7, v23
	v_pk_add_f16 v25, v38, v62 neg_lo:[0,1] neg_hi:[0,1]
	v_pk_mul_f16 v64, v43, s14 op_sel_hi:[0,1]
	v_add_f16_sdwa v24, v25, v24 dst_sel:DWORD dst_unused:UNUSED_PAD src0_sel:WORD_1 src1_sel:DWORD
	v_add_f16_e32 v23, v25, v23
	v_pk_add_f16 v25, v39, v63 neg_lo:[0,1] neg_hi:[0,1]
	v_pk_mul_f16 v65, v47, s17 op_sel_hi:[0,1]
	v_add_f16_sdwa v24, v25, v24 dst_sel:DWORD dst_unused:UNUSED_PAD src0_sel:WORD_1 src1_sel:DWORD
	;; [unrolled: 4-line block ×4, first 2 shown]
	v_add_f16_e32 v23, v25, v23
	v_pk_add_f16 v25, v42, v66 neg_lo:[0,1] neg_hi:[0,1]
	v_pk_mul_f16 v68, v45, s17 op_sel_hi:[0,1]
	v_add_f16_e32 v22, v22, v26
	v_add_f16_sdwa v24, v25, v24 dst_sel:DWORD dst_unused:UNUSED_PAD src0_sel:WORD_1 src1_sel:DWORD
	v_add_f16_e32 v23, v25, v23
	v_pk_add_f16 v25, v48, v67 neg_lo:[0,1] neg_hi:[0,1]
	v_pk_mul_f16 v69, v44, s8 op_sel_hi:[0,1]
	v_add_f16_e32 v22, v22, v27
	v_add_f16_e32 v26, v7, v25
	v_add_f16_sdwa v25, v7, v25 dst_sel:DWORD dst_unused:UNUSED_PAD src0_sel:DWORD src1_sel:WORD_1
	v_pk_add_f16 v27, v50, v68 neg_lo:[0,1] neg_hi:[0,1]
	v_pk_mul_f16 v70, v43, s19 op_sel_hi:[0,1]
	v_add_f16_e32 v26, v27, v26
	v_add_f16_sdwa v25, v27, v25 dst_sel:DWORD dst_unused:UNUSED_PAD src0_sel:WORD_1 src1_sel:DWORD
	v_pk_add_f16 v27, v51, v69 neg_lo:[0,1] neg_hi:[0,1]
	v_pk_mul_f16 v71, v47, s16 op_sel_hi:[0,1]
	v_add_f16_e32 v26, v27, v26
	v_add_f16_sdwa v25, v27, v25 dst_sel:DWORD dst_unused:UNUSED_PAD src0_sel:WORD_1 src1_sel:DWORD
	;; [unrolled: 4-line block ×5, first 2 shown]
	v_pk_add_f16 v27, v55, v46 neg_lo:[0,1] neg_hi:[0,1]
	v_pk_mul_f16 v44, v44, s16 op_sel_hi:[0,1]
	v_add_f16_e32 v22, v22, v28
	v_add_f16_sdwa v28, v7, v27 dst_sel:DWORD dst_unused:UNUSED_PAD src0_sel:DWORD src1_sel:WORD_1
	v_add_f16_e32 v7, v7, v27
	v_pk_add_f16 v27, v56, v45 neg_lo:[0,1] neg_hi:[0,1]
	v_pk_mul_f16 v43, v43, s20 op_sel_hi:[0,1]
	v_add_f16_sdwa v28, v27, v28 dst_sel:DWORD dst_unused:UNUSED_PAD src0_sel:WORD_1 src1_sel:DWORD
	v_add_f16_e32 v7, v27, v7
	v_pk_add_f16 v27, v57, v44 neg_lo:[0,1] neg_hi:[0,1]
	v_pk_mul_f16 v47, v47, s19 op_sel_hi:[0,1]
	v_add_f16_sdwa v28, v27, v28 dst_sel:DWORD dst_unused:UNUSED_PAD src0_sel:WORD_1 src1_sel:DWORD
	v_add_f16_e32 v7, v27, v7
	v_pk_add_f16 v27, v58, v43 neg_lo:[0,1] neg_hi:[0,1]
	v_pk_mul_f16 v49, v49, s21 op_sel_hi:[0,1]
	v_add_f16_e32 v22, v22, v29
	v_add_f16_sdwa v28, v27, v28 dst_sel:DWORD dst_unused:UNUSED_PAD src0_sel:WORD_1 src1_sel:DWORD
	v_add_f16_e32 v7, v27, v7
	v_pk_add_f16 v27, v59, v47 neg_lo:[0,1] neg_hi:[0,1]
	v_add_f16_e32 v22, v22, v30
	v_add_f16_sdwa v28, v27, v28 dst_sel:DWORD dst_unused:UNUSED_PAD src0_sel:WORD_1 src1_sel:DWORD
	v_add_f16_e32 v7, v27, v7
	v_pk_add_f16 v27, v60, v49 neg_lo:[0,1] neg_hi:[0,1]
	v_add_f16_e32 v22, v22, v31
	v_add_f16_sdwa v28, v27, v28 dst_sel:DWORD dst_unused:UNUSED_PAD src0_sel:WORD_1 src1_sel:DWORD
	v_add_f16_e32 v7, v27, v7
	v_mul_u32_u24_e32 v27, 26, v34
	v_add_f16_e32 v22, v22, v32
	v_or_b32_e32 v9, v27, v9
	v_add_f16_e32 v22, v22, v33
	v_lshl_add_u32 v9, v9, 1, 0
	ds_write_b16 v9, v22
	ds_write_b16 v9, v26 offset:4
	ds_write_b16 v9, v24 offset:8
	;; [unrolled: 1-line block ×7, first 2 shown]
	ds_write_b16_d16_hi v9, v36 offset:32
	ds_write_b16_d16_hi v9, v11 offset:36
	ds_write_b16 v9, v35 offset:40
	ds_write_b16_d16_hi v9, v35 offset:44
	ds_write_b16 v9, v36 offset:48
.LBB0_29:
	s_or_b64 exec, exec, s[6:7]
	s_waitcnt lgkmcnt(0)
	s_barrier
	ds_read_u16 v9, v0
	ds_read_u16 v27, v0 offset:572
	ds_read_u16 v26, v0 offset:1144
	;; [unrolled: 1-line block ×6, first 2 shown]
                                        ; implicit-def: $vgpr31
	s_and_saveexec_b64 s[6:7], s[2:3]
	s_cbranch_execz .LBB0_31
; %bb.30:
	ds_read_u16 v7, v0 offset:364
	ds_read_u16 v28, v0 offset:936
	;; [unrolled: 1-line block ×7, first 2 shown]
	s_mov_b32 s8, 0x5040100
	s_waitcnt lgkmcnt(4)
	v_perm_b32 v11, v11, v7, s8
	s_waitcnt lgkmcnt(2)
	v_perm_b32 v35, v30, v29, s8
	;; [unrolled: 2-line block ×3, first 2 shown]
.LBB0_31:
	s_or_b64 exec, exec, s[6:7]
	s_movk_i32 s6, 0x4f
	v_mul_lo_u16_sdwa v7, v8, s6 dst_sel:DWORD dst_unused:UNUSED_PAD src0_sel:BYTE_0 src1_sel:DWORD
	v_lshrrev_b16_e32 v32, 11, v7
	v_mul_lo_u16_e32 v7, 26, v32
	v_sub_u16_e32 v48, v8, v7
	v_mov_b32_e32 v7, 6
	v_mul_u32_u24_sdwa v7, v48, v7 dst_sel:DWORD dst_unused:UNUSED_PAD src0_sel:BYTE_0 src1_sel:DWORD
	s_movk_i32 s6, 0x4ec5
	v_lshlrev_b32_e32 v28, 2, v7
	v_mul_u32_u24_sdwa v7, v6, s6 dst_sel:DWORD dst_unused:UNUSED_PAD src0_sel:WORD_0 src1_sel:DWORD
	v_lshrrev_b32_e32 v7, 19, v7
	v_mul_lo_u16_e32 v30, 26, v7
	v_sub_u16_e32 v49, v6, v30
	v_mul_u32_u24_e32 v6, 6, v49
	global_load_dwordx4 v[37:40], v28, s[12:13] offset:96
	v_lshlrev_b32_e32 v6, 2, v6
	global_load_dwordx2 v[28:29], v28, s[12:13] offset:112
	s_nop 0
	global_load_dwordx4 v[42:45], v6, s[12:13] offset:96
	global_load_dwordx2 v[46:47], v6, s[12:13] offset:112
	v_lshrrev_b32_e32 v50, 16, v36
	v_lshrrev_b32_e32 v53, 16, v35
	v_lshrrev_b32_e32 v30, 16, v10
	v_lshrrev_b32_e32 v51, 16, v11
	v_lshrrev_b32_e32 v52, 16, v13
	v_lshrrev_b32_e32 v54, 16, v12
	s_movk_i32 s8, 0x2b26
	s_mov_b32 s9, 0xbb00
	s_mov_b32 s14, 0xbcab
	s_movk_i32 s15, 0x39e0
	s_mov_b32 s16, 0xb9e0
	s_mov_b32 s17, 0xb574
	s_movk_i32 s19, 0x3574
	s_mov_b32 s18, 0xb70e
	s_waitcnt vmcnt(0) lgkmcnt(0)
	s_barrier
	v_mul_f16_sdwa v6, v27, v37 dst_sel:DWORD dst_unused:UNUSED_PAD src0_sel:DWORD src1_sel:WORD_1
	v_mul_f16_sdwa v33, v21, v37 dst_sel:DWORD dst_unused:UNUSED_PAD src0_sel:DWORD src1_sel:WORD_1
	;; [unrolled: 1-line block ×15, first 2 shown]
	v_fma_f16 v6, v21, v37, v6
	v_fma_f16 v34, v27, v37, -v33
	v_fma_f16 v33, v20, v38, v41
	v_fma_f16 v17, v17, v28, v60
	;; [unrolled: 1-line block ×3, first 2 shown]
	v_mul_f16_sdwa v65, v30, v42 dst_sel:DWORD dst_unused:UNUSED_PAD src0_sel:DWORD src1_sel:WORD_1
	v_mul_f16_sdwa v66, v51, v43 dst_sel:DWORD dst_unused:UNUSED_PAD src0_sel:DWORD src1_sel:WORD_1
	;; [unrolled: 1-line block ×7, first 2 shown]
	v_fma_f16 v37, v26, v38, -v55
	v_fma_f16 v19, v19, v39, v56
	v_fma_f16 v38, v25, v39, -v57
	v_fma_f16 v18, v18, v40, v58
	v_fma_f16 v39, v24, v40, -v59
	v_fma_f16 v40, v23, v28, -v61
	;; [unrolled: 1-line block ×3, first 2 shown]
	v_fma_f16 v20, v30, v42, v64
	v_fma_f16 v26, v12, v45, v70
	;; [unrolled: 1-line block ×3, first 2 shown]
	v_add_f16_e32 v12, v6, v16
	v_add_f16_e32 v15, v33, v17
	v_mul_f16_sdwa v68, v35, v44 dst_sel:DWORD dst_unused:UNUSED_PAD src0_sel:DWORD src1_sel:WORD_1
	v_mul_f16_sdwa v72, v36, v46 dst_sel:DWORD dst_unused:UNUSED_PAD src0_sel:DWORD src1_sel:WORD_1
	v_fma_f16 v23, v50, v42, -v65
	v_fma_f16 v21, v13, v43, v66
	v_fma_f16 v24, v51, v43, -v67
	v_fma_f16 v25, v35, v44, -v69
	;; [unrolled: 1-line block ×3, first 2 shown]
	v_sub_f16_e32 v13, v34, v41
	v_sub_f16_e32 v35, v37, v40
	v_add_f16_e32 v36, v19, v18
	v_sub_f16_e32 v42, v39, v38
	v_add_f16_e32 v43, v15, v12
	v_fma_f16 v22, v52, v44, v68
	v_fma_f16 v27, v53, v45, -v71
	v_fma_f16 v28, v54, v46, v72
	v_sub_f16_e32 v44, v15, v12
	v_sub_f16_e32 v12, v12, v36
	;; [unrolled: 1-line block ×3, first 2 shown]
	v_add_f16_e32 v45, v42, v35
	v_sub_f16_e32 v46, v42, v35
	v_sub_f16_e32 v35, v35, v13
	v_add_f16_e32 v36, v36, v43
	v_sub_f16_e32 v42, v13, v42
	v_add_f16_e32 v13, v45, v13
	v_mul_f16_e32 v12, 0x3a52, v12
	v_mul_f16_e32 v43, 0x2b26, v15
	v_add_f16_e32 v14, v14, v36
	v_mul_f16_e32 v45, 0x3846, v46
	v_mul_f16_e32 v46, 0xbb00, v35
	v_fma_f16 v36, v36, s14, v14
	v_fma_f16 v15, v15, s8, v12
	v_fma_f16 v43, v44, s15, -v43
	v_fma_f16 v12, v44, s16, -v12
	v_fma_f16 v44, v42, s17, v45
	v_fma_f16 v35, v35, s9, -v45
	v_fma_f16 v42, v42, s19, -v46
	v_add_f16_e32 v15, v15, v36
	v_add_f16_e32 v43, v43, v36
	;; [unrolled: 1-line block ×3, first 2 shown]
	v_fma_f16 v36, v13, s18, v44
	v_fma_f16 v35, v13, s18, v35
	;; [unrolled: 1-line block ×3, first 2 shown]
	v_add_f16_e32 v42, v36, v15
	v_add_f16_e32 v44, v13, v12
	v_sub_f16_e32 v12, v12, v13
	v_sub_f16_e32 v13, v15, v36
	v_mul_u32_u24_e32 v15, 0x16c, v32
	v_mov_b32_e32 v32, 1
	v_lshlrev_b32_sdwa v32, v32, v48 dst_sel:DWORD dst_unused:UNUSED_PAD src0_sel:DWORD src1_sel:BYTE_0
	v_fma_f16 v31, v31, v47, -v75
	v_sub_f16_e32 v45, v43, v35
	v_add_f16_e32 v43, v35, v43
	v_add3_u32 v35, 0, v15, v32
	v_lshlrev_b32_e32 v32, 1, v49
	ds_write_b16 v35, v14
	ds_write_b16 v35, v42 offset:52
	ds_write_b16 v35, v44 offset:104
	;; [unrolled: 1-line block ×6, first 2 shown]
	s_and_saveexec_b64 s[6:7], s[2:3]
	s_cbranch_execz .LBB0_33
; %bb.32:
	v_add_f16_e32 v12, v20, v30
	v_add_f16_e32 v15, v21, v28
	v_add_f16_e32 v13, v22, v26
	v_add_f16_e32 v43, v15, v12
	v_sub_f16_e32 v44, v27, v25
	v_sub_f16_e32 v46, v24, v29
	;; [unrolled: 1-line block ×4, first 2 shown]
	v_add_f16_e32 v13, v13, v43
	v_sub_f16_e32 v43, v23, v31
	v_sub_f16_e32 v47, v44, v46
	v_mul_f16_e32 v14, 0x3a52, v14
	v_mul_f16_e32 v42, 0x2b26, v36
	v_add_f16_e32 v10, v10, v13
	v_sub_f16_e32 v45, v43, v44
	v_mul_f16_e32 v47, 0x3846, v47
	v_add_f16_e32 v44, v44, v46
	v_sub_f16_e32 v12, v15, v12
	v_sub_f16_e32 v15, v46, v43
	v_fma_f16 v36, v36, s8, v14
	v_fma_f16 v13, v13, s14, v10
	;; [unrolled: 1-line block ×3, first 2 shown]
	v_add_f16_e32 v44, v44, v43
	v_fma_f16 v14, v12, s16, -v14
	v_mul_f16_e32 v43, 0xbb00, v15
	v_fma_f16 v15, v15, s9, -v47
	v_fma_f16 v12, v12, s15, -v42
	v_add_f16_e32 v36, v36, v13
	v_fma_f16 v48, v44, s18, v48
	v_fma_f16 v15, v44, s18, v15
	v_add_f16_e32 v12, v12, v13
	v_sub_f16_e32 v49, v36, v48
	v_add_f16_e32 v14, v14, v13
	v_add_f16_e32 v13, v15, v12
	v_sub_f16_e32 v12, v12, v15
	v_add_f16_e32 v15, v48, v36
	v_mul_lo_u16_e32 v36, 0xb6, v7
	v_fma_f16 v43, v45, s19, -v43
	v_lshlrev_b32_e32 v36, 1, v36
	v_fma_f16 v43, v44, s18, v43
	v_add3_u32 v36, 0, v32, v36
	v_sub_f16_e32 v45, v14, v43
	v_add_f16_e32 v14, v43, v14
	ds_write_b16 v36, v10
	ds_write_b16 v36, v15 offset:52
	ds_write_b16 v36, v14 offset:104
	;; [unrolled: 1-line block ×6, first 2 shown]
.LBB0_33:
	s_or_b64 exec, exec, s[6:7]
	v_add_f16_e32 v10, v34, v41
	v_add_f16_e32 v12, v37, v40
	v_sub_f16_e32 v6, v6, v16
	v_sub_f16_e32 v13, v33, v17
	v_add_f16_e32 v14, v38, v39
	v_sub_f16_e32 v15, v18, v19
	v_add_f16_e32 v16, v12, v10
	v_sub_f16_e32 v17, v12, v10
	v_sub_f16_e32 v10, v10, v14
	;; [unrolled: 1-line block ×3, first 2 shown]
	v_add_f16_e32 v18, v15, v13
	v_sub_f16_e32 v19, v15, v13
	v_sub_f16_e32 v13, v13, v6
	v_add_f16_e32 v14, v14, v16
	v_sub_f16_e32 v15, v6, v15
	v_add_f16_e32 v6, v18, v6
	v_add_f16_e32 v33, v9, v14
	v_mul_f16_e32 v9, 0x3a52, v10
	v_mul_f16_e32 v10, 0x2b26, v12
	;; [unrolled: 1-line block ×4, first 2 shown]
	v_fma_f16 v14, v14, s14, v33
	v_fma_f16 v12, v12, s8, v9
	v_fma_f16 v10, v17, s15, -v10
	v_fma_f16 v9, v17, s16, -v9
	v_fma_f16 v17, v15, s17, v16
	v_fma_f16 v13, v13, s9, -v16
	v_fma_f16 v15, v15, s19, -v18
	v_add_f16_e32 v12, v12, v14
	v_add_f16_e32 v10, v10, v14
	;; [unrolled: 1-line block ×3, first 2 shown]
	v_fma_f16 v14, v6, s18, v17
	v_fma_f16 v13, v6, s18, v13
	v_fma_f16 v6, v6, s18, v15
	v_sub_f16_e32 v34, v12, v14
	v_sub_f16_e32 v36, v9, v6
	v_add_f16_e32 v37, v13, v10
	v_sub_f16_e32 v38, v10, v13
	v_add_f16_e32 v39, v6, v9
	v_add_f16_e32 v40, v14, v12
	s_waitcnt lgkmcnt(0)
	s_barrier
	ds_read_u16 v6, v0
	ds_read_u16 v16, v0 offset:364
	ds_read_u16 v15, v0 offset:728
	;; [unrolled: 1-line block ×10, first 2 shown]
	s_waitcnt lgkmcnt(0)
	s_barrier
	ds_write_b16 v35, v33
	ds_write_b16 v35, v34 offset:52
	ds_write_b16 v35, v36 offset:104
	;; [unrolled: 1-line block ×6, first 2 shown]
	s_and_saveexec_b64 s[6:7], s[2:3]
	s_cbranch_execz .LBB0_35
; %bb.34:
	v_add_f16_e32 v23, v23, v31
	v_add_f16_e32 v24, v24, v29
	;; [unrolled: 1-line block ×3, first 2 shown]
	v_sub_f16_e32 v22, v26, v22
	v_add_f16_e32 v26, v24, v23
	v_sub_f16_e32 v27, v24, v23
	v_sub_f16_e32 v23, v23, v25
	;; [unrolled: 1-line block ×3, first 2 shown]
	v_mul_f16_e32 v23, 0x3a52, v23
	s_movk_i32 s2, 0x2b26
	v_sub_f16_e32 v21, v21, v28
	v_add_f16_e32 v25, v25, v26
	v_mul_f16_e32 v26, 0x2b26, v24
	v_fma_f16 v24, v24, s2, v23
	s_movk_i32 s2, 0x39e0
	v_sub_f16_e32 v20, v20, v30
	v_add_f16_e32 v28, v22, v21
	v_sub_f16_e32 v29, v22, v21
	v_fma_f16 v26, v27, s2, -v26
	s_mov_b32 s2, 0xb9e0
	v_sub_f16_e32 v22, v20, v22
	v_sub_f16_e32 v21, v21, v20
	v_add_f16_e32 v20, v28, v20
	v_mul_f16_e32 v28, 0x3846, v29
	v_fma_f16 v23, v27, s2, -v23
	s_mov_b32 s2, 0xb574
	v_add_f16_e32 v11, v11, v25
	s_mov_b32 s3, 0xbb00
	v_mul_f16_e32 v29, 0xbb00, v21
	s_mov_b32 s8, 0xbcab
	v_fma_f16 v27, v22, s2, v28
	s_movk_i32 s2, 0x3574
	v_mul_lo_u16_e32 v7, 0xb6, v7
	v_fma_f16 v25, v25, s8, v11
	v_fma_f16 v21, v21, s3, -v28
	v_fma_f16 v22, v22, s2, -v29
	s_mov_b32 s2, 0xb70e
	v_lshlrev_b32_e32 v7, 1, v7
	v_add_f16_e32 v24, v24, v25
	v_add_f16_e32 v26, v26, v25
	;; [unrolled: 1-line block ×3, first 2 shown]
	v_fma_f16 v25, v20, s2, v27
	v_fma_f16 v21, v20, s2, v21
	v_fma_f16 v20, v20, s2, v22
	v_add3_u32 v7, 0, v32, v7
	v_sub_f16_e32 v22, v24, v25
	v_sub_f16_e32 v27, v23, v20
	v_add_f16_e32 v28, v21, v26
	v_sub_f16_e32 v21, v26, v21
	v_add_f16_e32 v20, v20, v23
	v_add_f16_e32 v23, v25, v24
	ds_write_b16 v7, v11
	ds_write_b16 v7, v22 offset:52
	ds_write_b16 v7, v27 offset:104
	;; [unrolled: 1-line block ×6, first 2 shown]
.LBB0_35:
	s_or_b64 exec, exec, s[6:7]
	s_waitcnt lgkmcnt(0)
	s_barrier
	s_and_saveexec_b64 s[2:3], s[0:1]
	s_cbranch_execz .LBB0_37
; %bb.36:
	v_mul_u32_u24_e32 v7, 10, v8
	v_lshlrev_b32_e32 v11, 2, v7
	global_load_dwordx4 v[20:23], v11, s[12:13] offset:720
	global_load_dwordx2 v[7:8], v11, s[12:13] offset:752
	global_load_dwordx4 v[24:27], v11, s[12:13] offset:736
	v_mul_lo_u32 v11, s5, v4
	v_mul_lo_u32 v5, s4, v5
	v_mad_u64_u32 v[28:29], s[0:1], s4, v4, 0
	ds_read_u16 v4, v0 offset:1092
	ds_read_u16 v30, v0 offset:1456
	;; [unrolled: 1-line block ×7, first 2 shown]
	ds_read_u16 v36, v0
	ds_read_u16 v37, v0 offset:3640
	ds_read_u16 v38, v0 offset:3276
	;; [unrolled: 1-line block ×3, first 2 shown]
	v_add3_u32 v29, v29, v5, v11
	s_movk_i32 s0, 0x3abb
	s_movk_i32 s1, 0x36a6
	s_mov_b32 s3, 0xb08e
	s_mov_b32 s2, 0xb93d
	;; [unrolled: 1-line block ×3, first 2 shown]
	s_waitcnt vmcnt(2)
	v_lshrrev_b32_e32 v5, 16, v20
	v_mul_f16_e32 v41, v16, v20
	s_waitcnt vmcnt(1)
	v_lshrrev_b32_e32 v43, 16, v8
	v_mul_f16_e32 v44, v19, v8
	v_lshrrev_b32_e32 v11, 16, v21
	v_lshrrev_b32_e32 v39, 16, v22
	;; [unrolled: 1-line block ×3, first 2 shown]
	v_mul_f16_e32 v45, v15, v21
	v_mul_f16_e32 v46, v18, v7
	;; [unrolled: 1-line block ×3, first 2 shown]
	s_waitcnt vmcnt(0)
	v_lshrrev_b32_e32 v51, 16, v27
	s_waitcnt lgkmcnt(4)
	v_fma_f16 v41, v35, v5, v41
	s_waitcnt lgkmcnt(2)
	v_fma_f16 v44, v37, v43, v44
	v_mul_f16_e32 v19, v19, v43
	v_mul_f16_e32 v5, v16, v5
	v_lshrrev_b32_e32 v50, 16, v26
	v_mul_f16_e32 v52, v17, v27
	v_fma_f16 v16, v34, v11, v45
	s_waitcnt lgkmcnt(1)
	v_fma_f16 v43, v38, v42, v46
	v_mul_f16_e32 v18, v18, v42
	v_mul_f16_e32 v11, v15, v11
	v_fma_f16 v15, v4, v39, v47
	v_mul_f16_e32 v17, v17, v51
	v_sub_f16_e32 v47, v41, v44
	v_fma_f16 v8, v37, v8, -v19
	v_fma_f16 v5, v35, v20, -v5
	v_lshrrev_b32_e32 v40, 16, v23
	v_mul_f16_e32 v53, v12, v23
	v_mul_f16_e32 v54, v14, v26
	s_waitcnt lgkmcnt(0)
	v_fma_f16 v42, v0, v51, v52
	v_mul_f16_e32 v13, v13, v39
	v_mul_f16_e32 v14, v14, v50
	v_sub_f16_e32 v19, v16, v43
	v_fma_f16 v7, v38, v7, -v18
	v_fma_f16 v11, v34, v21, -v11
	v_fma_f16 v0, v0, v27, -v17
	v_mul_f16_e32 v17, 0xb853, v47
	v_add_f16_e32 v20, v5, v8
	v_lshrrev_b32_e32 v48, 16, v24
	v_lshrrev_b32_e32 v49, 16, v25
	v_mul_f16_e32 v55, v9, v24
	v_mul_f16_e32 v56, v10, v25
	v_fma_f16 v39, v30, v40, v53
	v_fma_f16 v45, v32, v50, v54
	v_mul_f16_e32 v12, v12, v40
	v_sub_f16_e32 v18, v15, v42
	v_fma_f16 v4, v4, v22, -v13
	v_fma_f16 v14, v32, v26, -v14
	v_mul_f16_e32 v21, 0xbb47, v19
	v_add_f16_e32 v22, v11, v7
	v_fma_f16 v32, v20, s0, v17
	v_fma_f16 v40, v31, v48, v55
	v_fma_f16 v46, v33, v49, v56
	v_sub_f16_e32 v13, v39, v45
	v_fma_f16 v12, v30, v23, -v12
	v_mul_f16_e32 v23, 0xbbeb, v18
	v_add_f16_e32 v26, v4, v0
	v_fma_f16 v34, v22, s1, v21
	v_add_f16_e32 v32, v36, v32
	v_mul_f16_e32 v10, v10, v49
	v_mul_f16_e32 v9, v9, v48
	;; [unrolled: 1-line block ×3, first 2 shown]
	v_add_f16_e32 v30, v12, v14
	v_fma_f16 v35, v26, s3, v23
	v_add_f16_e32 v32, v32, v34
	v_sub_f16_e32 v34, v40, v46
	v_fma_f16 v10, v33, v25, -v10
	v_fma_f16 v9, v31, v24, -v9
	v_fma_f16 v37, v30, s2, v27
	v_add_f16_e32 v32, v32, v35
	v_mul_f16_e32 v35, 0xb482, v34
	v_add_f16_e32 v24, v9, v10
	v_add_f16_e32 v32, v32, v37
	v_fma_f16 v25, v24, s4, v35
	v_add_f16_e32 v25, v32, v25
	v_sub_f16_e32 v32, v5, v8
	v_add_f16_e32 v31, v41, v44
	v_mul_f16_e32 v33, 0xb853, v32
	v_sub_f16_e32 v48, v11, v7
	v_fma_f16 v37, v31, s0, -v33
	v_add_f16_e32 v38, v16, v43
	v_mul_f16_e32 v49, 0xbb47, v48
	v_add_f16_e32 v37, v6, v37
	v_fma_f16 v50, v38, s1, -v49
	v_sub_f16_e32 v51, v4, v0
	v_add_f16_e32 v37, v37, v50
	v_add_f16_e32 v50, v15, v42
	v_mul_f16_e32 v52, 0xbbeb, v51
	v_fma_f16 v53, v50, s3, -v52
	v_sub_f16_e32 v54, v12, v14
	v_add_f16_e32 v37, v37, v53
	v_add_f16_e32 v53, v39, v45
	v_mul_f16_e32 v55, 0xba0c, v54
	;; [unrolled: 5-line block ×3, first 2 shown]
	v_fma_f16 v59, v56, s4, -v58
	v_add_f16_e32 v37, v37, v59
	v_mul_f16_e32 v59, 0xbb47, v47
	v_fma_f16 v60, v20, s1, v59
	v_mul_f16_e32 v61, 0xba0c, v19
	v_add_f16_e32 v60, v36, v60
	v_fma_f16 v62, v22, s2, v61
	v_add_f16_e32 v60, v60, v62
	v_mul_f16_e32 v62, 0x3482, v18
	v_fma_f16 v63, v26, s4, v62
	v_add_f16_e32 v60, v60, v63
	v_mul_f16_e32 v63, 0x3beb, v13
	v_fma_f16 v64, v30, s3, v63
	v_add_f16_e32 v60, v60, v64
	v_mul_f16_e32 v64, 0x3853, v34
	v_fma_f16 v65, v24, s0, v64
	v_add_f16_e32 v60, v60, v65
	v_mul_f16_e32 v65, 0xbb47, v32
	v_fma_f16 v66, v31, s1, -v65
	v_mul_f16_e32 v67, 0xba0c, v48
	v_add_f16_e32 v66, v6, v66
	v_fma_f16 v68, v38, s2, -v67
	v_add_f16_e32 v66, v66, v68
	v_mul_f16_e32 v68, 0x3482, v51
	v_fma_f16 v69, v50, s4, -v68
	v_add_f16_e32 v66, v66, v69
	v_mul_f16_e32 v69, 0x3beb, v54
	v_fma_f16 v70, v53, s3, -v69
	v_add_f16_e32 v66, v66, v70
	v_mul_f16_e32 v70, 0x3853, v57
	v_fma_f16 v71, v56, s0, -v70
	v_add_f16_e32 v66, v66, v71
	v_mul_f16_e32 v71, 0xbbeb, v47
	v_fma_f16 v72, v20, s3, v71
	v_mul_f16_e32 v73, 0x3482, v19
	v_add_f16_e32 v72, v36, v72
	v_fma_f16 v74, v22, s4, v73
	v_add_f16_e32 v72, v72, v74
	v_mul_f16_e32 v74, 0x3b47, v18
	v_fma_f16 v75, v26, s1, v74
	v_add_f16_e32 v72, v72, v75
	v_mul_f16_e32 v75, 0xb853, v13
	v_fma_f16 v76, v30, s0, v75
	v_add_f16_e32 v72, v72, v76
	v_mul_f16_e32 v76, 0xba0c, v34
	v_fma_f16 v77, v24, s2, v76
	v_add_f16_e32 v72, v72, v77
	v_mul_f16_e32 v77, 0xbbeb, v32
	v_fma_f16 v78, v31, s3, -v77
	v_mul_f16_e32 v79, 0x3482, v48
	v_add_f16_e32 v78, v6, v78
	v_fma_f16 v80, v38, s4, -v79
	v_add_f16_e32 v78, v78, v80
	v_mul_f16_e32 v80, 0x3b47, v51
	v_fma_f16 v81, v50, s1, -v80
	v_add_f16_e32 v78, v78, v81
	v_mul_f16_e32 v81, 0xb853, v54
	v_fma_f16 v82, v53, s0, -v81
	v_add_f16_e32 v78, v78, v82
	v_mul_f16_e32 v82, 0xba0c, v57
	;; [unrolled: 30-line block ×3, first 2 shown]
	v_fma_f16 v95, v56, s1, -v94
	v_mul_f16_e32 v47, 0xb482, v47
	v_add_f16_e32 v90, v90, v95
	v_fma_f16 v95, v20, s4, v47
	v_mul_f16_e32 v19, 0x3853, v19
	v_fma_f16 v47, v20, s4, -v47
	v_add_f16_e32 v95, v36, v95
	v_fma_f16 v96, v22, s0, v19
	v_mul_f16_e32 v18, 0xba0c, v18
	v_add_f16_e32 v47, v36, v47
	v_fma_f16 v19, v22, s0, -v19
	v_add_f16_e32 v95, v95, v96
	v_fma_f16 v96, v26, s2, v18
	v_mul_f16_e32 v13, 0x3b47, v13
	v_add_f16_e32 v19, v47, v19
	v_fma_f16 v18, v26, s2, -v18
	v_add_f16_e32 v95, v95, v96
	v_fma_f16 v96, v30, s1, v13
	v_mul_f16_e32 v34, 0xbbeb, v34
	v_add_f16_e32 v18, v19, v18
	v_fma_f16 v13, v30, s1, -v13
	v_mul_f16_e32 v32, 0xb482, v32
	v_add_f16_e32 v13, v18, v13
	v_fma_f16 v18, v24, s3, -v34
	v_mul_f16_e32 v48, 0x3853, v48
	v_add_f16_e32 v13, v13, v18
	v_fma_f16 v18, v31, s4, v32
	v_mul_f16_e32 v51, 0xba0c, v51
	v_add_f16_e32 v18, v6, v18
	v_fma_f16 v19, v38, s0, v48
	v_mul_f16_e32 v54, 0x3b47, v54
	v_add_f16_e32 v18, v18, v19
	v_fma_f16 v19, v50, s2, v51
	v_mul_f16_e32 v57, 0xbbeb, v57
	v_add_f16_e32 v18, v18, v19
	v_fma_f16 v19, v53, s1, v54
	v_add_f16_e32 v18, v18, v19
	v_fma_f16 v19, v56, s3, v57
	v_add_f16_e32 v95, v95, v96
	v_fma_f16 v96, v24, s3, v34
	v_add_f16_e32 v18, v18, v19
	v_fma_f16 v19, v20, s2, -v83
	v_add_f16_e32 v95, v95, v96
	v_fma_f16 v96, v31, s4, -v32
	;; [unrolled: 2-line block ×6, first 2 shown]
	v_add_f16_e32 v19, v19, v32
	v_fma_f16 v32, v31, s2, v89
	v_add_f16_e32 v32, v6, v32
	v_fma_f16 v34, v38, s3, v91
	;; [unrolled: 2-line block ×5, first 2 shown]
	v_add_f16_e32 v32, v32, v34
	v_fma_f16 v34, v20, s3, -v71
	v_add_f16_e32 v34, v36, v34
	v_fma_f16 v47, v22, s4, -v73
	;; [unrolled: 2-line block ×5, first 2 shown]
	v_add_f16_e32 v34, v34, v47
	v_fma_f16 v47, v31, s3, v77
	v_fma_f16 v97, v38, s0, -v48
	v_add_f16_e32 v47, v6, v47
	v_fma_f16 v48, v38, s4, v79
	v_add_f16_e32 v47, v47, v48
	v_fma_f16 v48, v50, s1, v80
	;; [unrolled: 2-line block ×4, first 2 shown]
	v_add_f16_e32 v96, v6, v96
	v_add_f16_e32 v47, v47, v48
	v_fma_f16 v48, v20, s1, -v59
	v_fma_f16 v17, v20, s0, -v17
	v_add_f16_e32 v96, v96, v97
	v_fma_f16 v97, v50, s2, -v51
	v_add_f16_e32 v48, v36, v48
	;; [unrolled: 2-line block ×10, first 2 shown]
	v_fma_f16 v51, v31, s1, v65
	v_add_f16_e32 v17, v17, v20
	v_fma_f16 v20, v31, s0, v33
	v_add_f16_e32 v51, v6, v51
	v_add_f16_e32 v20, v6, v20
	;; [unrolled: 1-line block ×20, first 2 shown]
	v_lshlrev_b64 v[5:6], 2, v[28:29]
	v_add_f16_e32 v0, v7, v0
	v_add_f16_e32 v7, v8, v0
	v_mov_b32_e32 v0, s11
	v_add_co_u32_e32 v5, vcc, s10, v5
	v_addc_co_u32_e32 v6, vcc, v0, v6, vcc
	v_lshlrev_b64 v[0:1], 2, v[1:2]
	v_fma_f16 v21, v38, s1, v49
	v_mov_b32_e32 v4, 0
	v_add_co_u32_e32 v2, vcc, v5, v0
	v_add_f16_e32 v96, v96, v97
	v_fma_f16 v97, v53, s1, -v54
	v_fma_f16 v54, v38, s2, v67
	v_add_f16_e32 v20, v20, v21
	v_fma_f16 v21, v50, s3, v52
	v_addc_co_u32_e32 v5, vcc, v6, v1, vcc
	v_lshlrev_b64 v[0:1], 2, v[3:4]
	v_add_f16_e32 v51, v51, v54
	v_fma_f16 v54, v50, s4, v68
	v_add_f16_e32 v20, v20, v21
	v_fma_f16 v21, v53, s2, v55
	;; [unrolled: 2-line block ×4, first 2 shown]
	v_add_co_u32_e32 v0, vcc, v2, v0
	v_add_f16_e32 v51, v51, v54
	v_fma_f16 v54, v56, s0, v70
	v_add_f16_e32 v20, v20, v21
	v_addc_co_u32_e32 v1, vcc, v5, v1, vcc
	v_pack_b32_f16 v2, v15, v7
	v_add_f16_e32 v51, v51, v54
	global_store_dword v[0:1], v2, off
	v_pack_b32_f16 v2, v20, v17
	global_store_dword v[0:1], v2, off offset:728
	v_pack_b32_f16 v2, v51, v48
	global_store_dword v[0:1], v2, off offset:1456
	v_pack_b32_f16 v2, v47, v34
	global_store_dword v[0:1], v2, off offset:2184
	v_pack_b32_f16 v2, v32, v19
	v_add_f16_e32 v96, v96, v97
	v_fma_f16 v97, v56, s3, -v57
	global_store_dword v[0:1], v2, off offset:2912
	v_pack_b32_f16 v2, v18, v13
	v_add_f16_e32 v96, v96, v97
	global_store_dword v[0:1], v2, off offset:3640
	v_add_co_u32_e32 v0, vcc, 0x1000, v0
	v_pack_b32_f16 v2, v96, v95
	v_addc_co_u32_e32 v1, vcc, 0, v1, vcc
	global_store_dword v[0:1], v2, off offset:272
	v_pack_b32_f16 v2, v90, v84
	global_store_dword v[0:1], v2, off offset:1000
	v_pack_b32_f16 v2, v78, v72
	;; [unrolled: 2-line block ×4, first 2 shown]
	global_store_dword v[0:1], v2, off offset:3184
.LBB0_37:
	s_endpgm
	.section	.rodata,"a",@progbits
	.p2align	6, 0x0
	.amdhsa_kernel fft_rtc_back_len2002_factors_2_13_7_11_wgs_182_tpt_182_halfLds_half_op_CI_CI_unitstride_sbrr_dirReg
		.amdhsa_group_segment_fixed_size 0
		.amdhsa_private_segment_fixed_size 0
		.amdhsa_kernarg_size 104
		.amdhsa_user_sgpr_count 6
		.amdhsa_user_sgpr_private_segment_buffer 1
		.amdhsa_user_sgpr_dispatch_ptr 0
		.amdhsa_user_sgpr_queue_ptr 0
		.amdhsa_user_sgpr_kernarg_segment_ptr 1
		.amdhsa_user_sgpr_dispatch_id 0
		.amdhsa_user_sgpr_flat_scratch_init 0
		.amdhsa_user_sgpr_private_segment_size 0
		.amdhsa_uses_dynamic_stack 0
		.amdhsa_system_sgpr_private_segment_wavefront_offset 0
		.amdhsa_system_sgpr_workgroup_id_x 1
		.amdhsa_system_sgpr_workgroup_id_y 0
		.amdhsa_system_sgpr_workgroup_id_z 0
		.amdhsa_system_sgpr_workgroup_info 0
		.amdhsa_system_vgpr_workitem_id 0
		.amdhsa_next_free_vgpr 98
		.amdhsa_next_free_sgpr 28
		.amdhsa_reserve_vcc 1
		.amdhsa_reserve_flat_scratch 0
		.amdhsa_float_round_mode_32 0
		.amdhsa_float_round_mode_16_64 0
		.amdhsa_float_denorm_mode_32 3
		.amdhsa_float_denorm_mode_16_64 3
		.amdhsa_dx10_clamp 1
		.amdhsa_ieee_mode 1
		.amdhsa_fp16_overflow 0
		.amdhsa_exception_fp_ieee_invalid_op 0
		.amdhsa_exception_fp_denorm_src 0
		.amdhsa_exception_fp_ieee_div_zero 0
		.amdhsa_exception_fp_ieee_overflow 0
		.amdhsa_exception_fp_ieee_underflow 0
		.amdhsa_exception_fp_ieee_inexact 0
		.amdhsa_exception_int_div_zero 0
	.end_amdhsa_kernel
	.text
.Lfunc_end0:
	.size	fft_rtc_back_len2002_factors_2_13_7_11_wgs_182_tpt_182_halfLds_half_op_CI_CI_unitstride_sbrr_dirReg, .Lfunc_end0-fft_rtc_back_len2002_factors_2_13_7_11_wgs_182_tpt_182_halfLds_half_op_CI_CI_unitstride_sbrr_dirReg
                                        ; -- End function
	.section	.AMDGPU.csdata,"",@progbits
; Kernel info:
; codeLenInByte = 10272
; NumSgprs: 32
; NumVgprs: 98
; ScratchSize: 0
; MemoryBound: 0
; FloatMode: 240
; IeeeMode: 1
; LDSByteSize: 0 bytes/workgroup (compile time only)
; SGPRBlocks: 3
; VGPRBlocks: 24
; NumSGPRsForWavesPerEU: 32
; NumVGPRsForWavesPerEU: 98
; Occupancy: 2
; WaveLimiterHint : 1
; COMPUTE_PGM_RSRC2:SCRATCH_EN: 0
; COMPUTE_PGM_RSRC2:USER_SGPR: 6
; COMPUTE_PGM_RSRC2:TRAP_HANDLER: 0
; COMPUTE_PGM_RSRC2:TGID_X_EN: 1
; COMPUTE_PGM_RSRC2:TGID_Y_EN: 0
; COMPUTE_PGM_RSRC2:TGID_Z_EN: 0
; COMPUTE_PGM_RSRC2:TIDIG_COMP_CNT: 0
	.type	__hip_cuid_5e87481816689eee,@object ; @__hip_cuid_5e87481816689eee
	.section	.bss,"aw",@nobits
	.globl	__hip_cuid_5e87481816689eee
__hip_cuid_5e87481816689eee:
	.byte	0                               ; 0x0
	.size	__hip_cuid_5e87481816689eee, 1

	.ident	"AMD clang version 19.0.0git (https://github.com/RadeonOpenCompute/llvm-project roc-6.4.0 25133 c7fe45cf4b819c5991fe208aaa96edf142730f1d)"
	.section	".note.GNU-stack","",@progbits
	.addrsig
	.addrsig_sym __hip_cuid_5e87481816689eee
	.amdgpu_metadata
---
amdhsa.kernels:
  - .args:
      - .actual_access:  read_only
        .address_space:  global
        .offset:         0
        .size:           8
        .value_kind:     global_buffer
      - .offset:         8
        .size:           8
        .value_kind:     by_value
      - .actual_access:  read_only
        .address_space:  global
        .offset:         16
        .size:           8
        .value_kind:     global_buffer
      - .actual_access:  read_only
        .address_space:  global
        .offset:         24
        .size:           8
        .value_kind:     global_buffer
      - .actual_access:  read_only
        .address_space:  global
        .offset:         32
        .size:           8
        .value_kind:     global_buffer
      - .offset:         40
        .size:           8
        .value_kind:     by_value
      - .actual_access:  read_only
        .address_space:  global
        .offset:         48
        .size:           8
        .value_kind:     global_buffer
      - .actual_access:  read_only
        .address_space:  global
        .offset:         56
        .size:           8
        .value_kind:     global_buffer
      - .offset:         64
        .size:           4
        .value_kind:     by_value
      - .actual_access:  read_only
        .address_space:  global
        .offset:         72
        .size:           8
        .value_kind:     global_buffer
      - .actual_access:  read_only
        .address_space:  global
        .offset:         80
        .size:           8
        .value_kind:     global_buffer
      - .actual_access:  read_only
        .address_space:  global
        .offset:         88
        .size:           8
        .value_kind:     global_buffer
      - .actual_access:  write_only
        .address_space:  global
        .offset:         96
        .size:           8
        .value_kind:     global_buffer
    .group_segment_fixed_size: 0
    .kernarg_segment_align: 8
    .kernarg_segment_size: 104
    .language:       OpenCL C
    .language_version:
      - 2
      - 0
    .max_flat_workgroup_size: 182
    .name:           fft_rtc_back_len2002_factors_2_13_7_11_wgs_182_tpt_182_halfLds_half_op_CI_CI_unitstride_sbrr_dirReg
    .private_segment_fixed_size: 0
    .sgpr_count:     32
    .sgpr_spill_count: 0
    .symbol:         fft_rtc_back_len2002_factors_2_13_7_11_wgs_182_tpt_182_halfLds_half_op_CI_CI_unitstride_sbrr_dirReg.kd
    .uniform_work_group_size: 1
    .uses_dynamic_stack: false
    .vgpr_count:     98
    .vgpr_spill_count: 0
    .wavefront_size: 64
amdhsa.target:   amdgcn-amd-amdhsa--gfx906
amdhsa.version:
  - 1
  - 2
...

	.end_amdgpu_metadata
